;; amdgpu-corpus repo=zjin-lcf/HeCBench kind=compiled arch=gfx906 opt=O3
	.amdgcn_target "amdgcn-amd-amdhsa--gfx906"
	.amdhsa_code_object_version 6
	.text
	.protected	_Z14PetrinetKernelPiPfS_iii ; -- Begin function _Z14PetrinetKernelPiPfS_iii
	.globl	_Z14PetrinetKernelPiPfS_iii
	.p2align	8
	.type	_Z14PetrinetKernelPiPfS_iii,@function
_Z14PetrinetKernelPiPfS_iii:            ; @_Z14PetrinetKernelPiPfS_iii
; %bb.0:
	s_load_dwordx4 s[20:23], s[4:5], 0x18
	s_load_dwordx2 s[0:1], s[4:5], 0x0
	s_mov_b32 s3, 0
	s_waitcnt lgkmcnt(0)
	s_mul_i32 s8, s20, s20
	s_lshl_b32 s7, s8, 1
	s_lshr_b32 s33, s8, 1
	s_add_i32 s2, s33, s7
	s_mul_i32 s2, s2, s6
	s_lshl_b64 s[2:3], s[2:3], 2
	s_add_u32 s30, s0, s2
	s_addc_u32 s31, s1, s3
	s_lshr_b32 s34, s8, 9
	s_cmpk_gt_u32 s8, 0x1ff
	s_cselect_b64 s[14:15], -1, 0
	s_cmpk_lt_u32 s8, 0x200
	s_cbranch_scc1 .LBB0_3
; %bb.1:
	v_mov_b32_e32 v2, 0
	v_mov_b32_e32 v3, s31
	;; [unrolled: 1-line block ×3, first 2 shown]
	s_mov_b32 s0, s34
	v_mov_b32_e32 v1, v0
.LBB0_2:                                ; =>This Inner Loop Header: Depth=1
	v_lshlrev_b64 v[5:6], 2, v[1:2]
	s_add_i32 s0, s0, -1
	v_add_co_u32_e32 v5, vcc, s30, v5
	v_add_u32_e32 v1, 0x100, v1
	s_cmp_lg_u32 s0, 0
	v_addc_co_u32_e32 v6, vcc, v3, v6, vcc
	global_store_dword v[5:6], v4, off
	s_cbranch_scc1 .LBB0_2
.LBB0_3:
	s_lshl_b32 s35, s34, 8
	s_sub_i32 s0, s33, s35
	v_cmp_gt_u32_e32 vcc, s0, v0
	s_and_saveexec_b64 s[0:1], vcc
	s_cbranch_execz .LBB0_5
; %bb.4:
	v_add_u32_e32 v1, s35, v0
	v_mov_b32_e32 v2, 0
	v_lshlrev_b64 v[1:2], 2, v[1:2]
	v_mov_b32_e32 v3, s31
	v_add_co_u32_e32 v1, vcc, s30, v1
	v_addc_co_u32_e32 v2, vcc, v3, v2, vcc
	v_mov_b32_e32 v3, 0x1010101
	global_store_dword v[1:2], v3, off
.LBB0_5:
	s_or_b64 exec, exec, s[0:1]
	s_load_dwordx4 s[16:19], s[4:5], 0x8
	v_cmp_eq_u32_e64 s[0:1], 0, v0
	s_and_saveexec_b64 s[2:3], s[0:1]
	s_cbranch_execz .LBB0_8
; %bb.6:
	s_add_i32 s9, s22, s6
	v_mov_b32_e32 v1, 0
	v_mov_b32_e32 v2, s9
	s_mov_b32 s4, 1
	s_mov_b32 s5, 7
	;; [unrolled: 1-line block ×3, first 2 shown]
	ds_write_b32 v1, v2
.LBB0_7:                                ; =>This Inner Loop Header: Depth=1
	s_lshr_b32 s10, s9, 30
	s_xor_b32 s9, s10, s9
	s_mul_i32 s9, s9, 0x6c078965
	s_add_i32 s9, s5, s9
	s_add_i32 s9, s9, -6
	s_lshr_b32 s10, s9, 30
	v_mov_b32_e32 v2, s9
	s_xor_b32 s9, s10, s9
	s_mul_i32 s9, s9, 0x6c078965
	s_add_i32 s9, s5, s9
	s_add_i32 s9, s9, -5
	s_lshr_b32 s10, s9, 30
	v_mov_b32_e32 v3, s9
	s_xor_b32 s9, s10, s9
	s_mul_i32 s9, s9, 0x6c078965
	s_add_i32 s9, s5, s9
	s_add_i32 s9, s9, -4
	v_mov_b32_e32 v1, s8
	s_lshr_b32 s10, s9, 30
	ds_write2_b32 v1, v2, v3 offset1:1
	v_mov_b32_e32 v2, s9
	s_xor_b32 s9, s10, s9
	s_mul_i32 s9, s9, 0x6c078965
	s_add_i32 s9, s5, s9
	s_add_i32 s9, s9, -3
	s_lshr_b32 s10, s9, 30
	v_mov_b32_e32 v3, s9
	s_xor_b32 s9, s10, s9
	s_mul_i32 s9, s9, 0x6c078965
	s_add_i32 s9, s5, s9
	s_add_i32 s9, s9, -2
	s_lshr_b32 s10, s9, 30
	ds_write2_b32 v1, v2, v3 offset0:2 offset1:3
	v_mov_b32_e32 v2, s9
	s_xor_b32 s9, s10, s9
	s_mul_i32 s9, s9, 0x6c078965
	s_add_i32 s9, s5, s9
	s_add_i32 s9, s9, -1
	s_lshr_b32 s10, s9, 30
	v_mov_b32_e32 v3, s9
	s_xor_b32 s9, s10, s9
	s_mul_i32 s9, s9, 0x6c078965
	s_add_i32 s10, s4, s9
	s_add_i32 s8, s8, 28
	;; [unrolled: 1-line block ×6, first 2 shown]
	ds_write2_b32 v1, v2, v3 offset0:4 offset1:5
	v_mov_b32_e32 v2, s11
	s_cmpk_lg_i32 s5, 0x276
	ds_write_b32 v1, v2 offset:24
	s_cbranch_scc1 .LBB0_7
.LBB0_8:
	s_or_b64 exec, exec, s[2:3]
	s_cmp_lt_i32 s21, 1
	v_lshlrev_b32_e32 v5, 2, v0
	s_waitcnt vmcnt(0) lgkmcnt(0)
	s_barrier
	s_cbranch_scc1 .LBB0_69
; %bb.9:
	s_lshl_b32 s36, s20, 1
	s_mul_i32 s37, s36, s20
	s_ashr_i32 s4, s37, 2
	s_ashr_i32 s5, s4, 31
	s_lshl_b64 s[4:5], s[4:5], 2
	s_add_u32 s38, s30, s4
	s_addc_u32 s39, s31, s5
	s_abs_i32 s40, s20
	v_cvt_f32_u32_e32 v1, s37
	v_cvt_f32_u32_e32 v2, s40
	s_sub_i32 s8, 0, s37
	s_sub_i32 s9, 0, s40
	v_rcp_iflag_f32_e32 v1, v1
	v_rcp_iflag_f32_e32 v2, v2
	s_movk_i32 s2, 0xe3
	v_cmp_gt_u32_e32 vcc, s2, v0
	v_mul_f32_e32 v1, 0x4f7ffffe, v1
	v_mul_f32_e32 v2, 0x4f7ffffe, v2
	v_cvt_u32_f32_e32 v1, v1
	v_cvt_u32_f32_e32 v2, v2
	s_movk_i32 s2, 0xa9
	s_movk_i32 s4, 0x100
	v_mul_lo_u32 v3, s8, v1
	v_mul_lo_u32 v4, s9, v2
	s_add_i32 s41, s20, -1
	s_movk_i32 s8, 0x70
	v_mul_hi_u32 v3, v1, v3
	v_mul_hi_u32 v4, v2, v4
	s_movk_i32 s10, 0x600
	v_cmp_gt_u32_e64 s[2:3], s2, v0
	v_cmp_gt_u32_e64 s[4:5], s4, v0
	s_add_i32 s42, s41, s20
	v_cmp_gt_u32_e64 s[8:9], s8, v0
	s_mov_b32 s43, 0
	v_add_u32_e32 v6, v1, v3
	v_mov_b32_e32 v7, 0
	s_ashr_i32 s44, s20, 31
	v_add_u32_e32 v8, v2, v4
	s_mov_b32 s45, 0x7ffffffe
	v_add_u32_e32 v9, 0x718, v5
	v_add_u32_e64 v10, s10, 0
	s_branch .LBB0_11
.LBB0_10:                               ;   in Loop: Header=BB0_11 Depth=1
	s_or_b64 exec, exec, s[22:23]
	s_addk_i32 s43, 0x138
	s_cmp_lt_i32 s43, s21
	s_waitcnt vmcnt(0)
	s_barrier
	s_cbranch_scc0 .LBB0_69
.LBB0_11:                               ; =>This Inner Loop Header: Depth=1
                                        ; implicit-def: $vgpr1
	s_and_saveexec_b64 s[10:11], vcc
	s_cbranch_execz .LBB0_13
; %bb.12:                               ;   in Loop: Header=BB0_11 Depth=1
	ds_read2_b32 v[1:2], v5 offset1:1
	ds_read_b32 v3, v5 offset:1588
	s_waitcnt lgkmcnt(1)
	v_and_b32_e32 v1, 0x80000000, v1
	v_and_or_b32 v1, v2, s45, v1
	v_bfe_i32 v4, v2, 0, 1
	v_lshrrev_b32_e32 v1, 1, v1
	s_waitcnt lgkmcnt(0)
	v_xor_b32_e32 v1, v1, v3
	v_and_b32_e32 v2, 0x9908b0df, v4
	v_xor_b32_e32 v1, v1, v2
.LBB0_13:                               ;   in Loop: Header=BB0_11 Depth=1
	s_or_b64 exec, exec, s[10:11]
	s_barrier
	s_and_saveexec_b64 s[10:11], vcc
; %bb.14:                               ;   in Loop: Header=BB0_11 Depth=1
	ds_write_b32 v5, v1
; %bb.15:                               ;   in Loop: Header=BB0_11 Depth=1
	s_or_b64 exec, exec, s[10:11]
	s_waitcnt lgkmcnt(0)
	s_barrier
	s_and_saveexec_b64 s[10:11], vcc
	s_cbranch_execz .LBB0_17
; %bb.16:                               ;   in Loop: Header=BB0_11 Depth=1
	ds_read2_b32 v[1:2], v5 offset0:227 offset1:228
	ds_read_b32 v3, v5
	s_waitcnt lgkmcnt(1)
	v_and_b32_e32 v1, 0x80000000, v1
	v_and_or_b32 v1, v2, s45, v1
	v_bfe_i32 v4, v2, 0, 1
	v_lshrrev_b32_e32 v1, 1, v1
	s_waitcnt lgkmcnt(0)
	v_xor_b32_e32 v1, v1, v3
	v_and_b32_e32 v2, 0x9908b0df, v4
	v_xor_b32_e32 v1, v1, v2
.LBB0_17:                               ;   in Loop: Header=BB0_11 Depth=1
	s_or_b64 exec, exec, s[10:11]
	s_barrier
	s_and_saveexec_b64 s[10:11], vcc
; %bb.18:                               ;   in Loop: Header=BB0_11 Depth=1
	ds_write_b32 v5, v1 offset:908
; %bb.19:                               ;   in Loop: Header=BB0_11 Depth=1
	s_or_b64 exec, exec, s[10:11]
	s_waitcnt lgkmcnt(0)
	s_barrier
	s_and_saveexec_b64 s[10:11], s[2:3]
	s_cbranch_execz .LBB0_21
; %bb.20:                               ;   in Loop: Header=BB0_11 Depth=1
	ds_read2_b32 v[1:2], v9 offset1:1
	ds_read_b32 v3, v5 offset:908
	s_waitcnt lgkmcnt(1)
	v_and_b32_e32 v1, 0x80000000, v1
	v_and_or_b32 v1, v2, s45, v1
	v_bfe_i32 v4, v2, 0, 1
	v_lshrrev_b32_e32 v1, 1, v1
	s_waitcnt lgkmcnt(0)
	v_xor_b32_e32 v1, v1, v3
	v_and_b32_e32 v2, 0x9908b0df, v4
	v_xor_b32_e32 v1, v1, v2
.LBB0_21:                               ;   in Loop: Header=BB0_11 Depth=1
	s_or_b64 exec, exec, s[10:11]
	s_barrier
	s_and_saveexec_b64 s[10:11], s[2:3]
; %bb.22:                               ;   in Loop: Header=BB0_11 Depth=1
	ds_write_b32 v5, v1 offset:1816
; %bb.23:                               ;   in Loop: Header=BB0_11 Depth=1
	s_or_b64 exec, exec, s[10:11]
	s_waitcnt lgkmcnt(0)
	s_barrier
	s_and_saveexec_b64 s[10:11], s[0:1]
	s_cbranch_execz .LBB0_25
; %bb.24:                               ;   in Loop: Header=BB0_11 Depth=1
	ds_read2_b32 v[1:2], v10 offset0:12 offset1:239
	ds_read_b32 v3, v7
	s_waitcnt lgkmcnt(1)
	v_and_b32_e32 v2, 0x80000000, v2
	s_waitcnt lgkmcnt(0)
	v_and_b32_e32 v4, 0x7ffffffe, v3
	v_or_b32_e32 v2, v4, v2
	v_bfe_i32 v3, v3, 0, 1
	v_lshrrev_b32_e32 v2, 1, v2
	v_xor_b32_e32 v1, v2, v1
	v_and_b32_e32 v2, 0x9908b0df, v3
	v_xor_b32_e32 v1, v1, v2
	ds_write_b32 v7, v1 offset:2492
.LBB0_25:                               ;   in Loop: Header=BB0_11 Depth=1
	s_or_b64 exec, exec, s[10:11]
	s_waitcnt lgkmcnt(0)
	s_barrier
	ds_read_b32 v1, v5
	s_add_i32 s46, s43, 7
	s_mov_b64 s[22:23], -1
                                        ; implicit-def: $vgpr15
                                        ; implicit-def: $vgpr14
	s_waitcnt lgkmcnt(0)
	v_mul_hi_u32 v2, v1, v6
	v_mul_lo_u32 v2, v2, s37
	v_sub_u32_e32 v1, v1, v2
	v_subrev_u32_e32 v2, s37, v1
	v_cmp_le_u32_e64 s[10:11], s37, v1
	v_cndmask_b32_e64 v1, v1, v2, s[10:11]
	v_subrev_u32_e32 v2, s37, v1
	v_cmp_le_u32_e64 s[10:11], s37, v1
	v_cndmask_b32_e64 v1, v1, v2, s[10:11]
	v_sub_u32_e32 v2, 0, v1
	v_max_i32_e32 v3, v1, v2
	v_mul_hi_u32 v4, v3, v8
	v_ashrrev_i32_e32 v2, 31, v1
	v_xor_b32_e32 v12, s44, v2
	v_mul_lo_u32 v11, v4, s40
	v_add_u32_e32 v13, 1, v4
	v_sub_u32_e32 v3, v3, v11
	v_cmp_le_u32_e64 s[10:11], s40, v3
	v_subrev_u32_e32 v11, s40, v3
	v_cndmask_b32_e64 v4, v4, v13, s[10:11]
	v_cndmask_b32_e64 v3, v3, v11, s[10:11]
	v_add_u32_e32 v11, 1, v4
	v_cmp_le_u32_e64 s[10:11], s40, v3
	v_cndmask_b32_e64 v3, v4, v11, s[10:11]
	v_xor_b32_e32 v3, v3, v12
	v_sub_u32_e32 v16, v3, v12
	v_mul_lo_u32 v4, v16, s20
	s_mov_b64 s[10:11], -1
                                        ; implicit-def: $vgpr12
                                        ; implicit-def: $vgpr3
                                        ; implicit-def: $vgpr13
	v_sub_u32_e32 v11, v1, v4
	s_and_saveexec_b64 s[24:25], s[4:5]
	s_cbranch_execz .LBB0_29
; %bb.26:                               ;   in Loop: Header=BB0_11 Depth=1
	v_mov_b32_e32 v3, s36
	v_cmp_eq_u32_e64 s[10:11], 0, v16
	v_cndmask_b32_e64 v3, v16, v3, s[10:11]
	v_add_u32_e32 v12, -1, v3
	v_and_b32_e32 v3, 1, v16
	v_add_u32_e32 v13, 1, v11
	v_cmp_ne_u32_e64 s[10:11], s41, v11
	v_cndmask_b32_e64 v13, 0, v13, s[10:11]
	v_cmp_eq_u32_e64 s[10:11], 0, v3
	v_cndmask_b32_e64 v3, v13, v11, s[10:11]
	v_mad_u64_u32 v[13:14], s[10:11], v12, s20, v[3:4]
	v_mov_b32_e32 v15, s31
	s_mov_b64 s[28:29], -1
	v_ashrrev_i32_e32 v14, 31, v13
	v_add_co_u32_e64 v17, s[10:11], s30, v13
	v_addc_co_u32_e64 v18, s[10:11], v15, v14, s[10:11]
	v_add_co_u32_e64 v19, s[10:11], s30, v1
	v_addc_co_u32_e64 v20, s[10:11], v15, v2, s[10:11]
	global_load_ubyte v13, v[19:20], off
	global_load_sbyte v14, v[17:18], off
	v_cmp_ne_u32_e64 s[10:11], s42, v16
	s_waitcnt vmcnt(1)
	v_bfe_i32 v13, v13, 0, 8
	s_waitcnt vmcnt(0)
	v_min_i16_e32 v15, v14, v13
	v_cmp_lt_i16_e64 s[12:13], 0, v15
	s_and_saveexec_b64 s[26:27], s[12:13]
	s_cbranch_execz .LBB0_28
; %bb.27:                               ;   in Loop: Header=BB0_11 Depth=1
	v_lshlrev_b64 v[17:18], 2, v[1:2]
	v_mov_b32_e32 v15, s39
	v_add_co_u32_e64 v17, s[12:13], s38, v17
	v_addc_co_u32_e64 v18, s[12:13], v15, v18, s[12:13]
	v_mov_b32_e32 v15, s46
	s_xor_b64 s[28:29], exec, -1
	global_store_dword v[17:18], v15, off
.LBB0_28:                               ;   in Loop: Header=BB0_11 Depth=1
	s_or_b64 exec, exec, s[26:27]
	v_add_u32_e32 v15, 1, v16
	v_cndmask_b32_e64 v15, 0, v15, s[10:11]
	s_orn2_b64 s[10:11], s[28:29], exec
.LBB0_29:                               ;   in Loop: Header=BB0_11 Depth=1
	s_or_b64 exec, exec, s[24:25]
	s_xor_b64 s[10:11], s[10:11], -1
	s_waitcnt vmcnt(0)
	s_barrier
	s_and_saveexec_b64 s[12:13], s[10:11]
	s_cbranch_execz .LBB0_35
; %bb.30:                               ;   in Loop: Header=BB0_11 Depth=1
	v_and_b32_e32 v16, 1, v16
	v_cmp_eq_u32_e64 s[10:11], 0, v16
	s_mov_b64 s[24:25], 0
	s_and_saveexec_b64 s[22:23], s[10:11]
	s_cbranch_execz .LBB0_34
; %bb.31:                               ;   in Loop: Header=BB0_11 Depth=1
	v_mad_u64_u32 v[16:17], s[10:11], v12, s20, v[3:4]
	v_mov_b32_e32 v18, s39
	s_mov_b64 s[26:27], -1
	v_ashrrev_i32_e32 v17, 31, v16
	v_lshlrev_b64 v[16:17], 2, v[16:17]
	v_add_co_u32_e64 v16, s[10:11], s38, v16
	v_addc_co_u32_e64 v17, s[10:11], v18, v17, s[10:11]
	global_load_dword v16, v[16:17], off
	s_waitcnt vmcnt(0)
	v_cmp_ne_u32_e64 s[10:11], s46, v16
	s_and_saveexec_b64 s[24:25], s[10:11]
	s_cbranch_execz .LBB0_33
; %bb.32:                               ;   in Loop: Header=BB0_11 Depth=1
	v_mul_lo_u32 v16, v15, s20
	v_mov_b32_e32 v17, s20
	v_cmp_eq_u32_e64 s[10:11], 0, v3
	v_cndmask_b32_e64 v17, v3, v17, s[10:11]
	v_ashrrev_i32_e32 v18, 31, v16
	v_ashrrev_i32_e32 v19, 31, v17
	v_add_co_u32_e64 v16, s[10:11], v17, v16
	v_addc_co_u32_e64 v17, s[10:11], v19, v18, s[10:11]
	v_lshlrev_b64 v[16:17], 2, v[16:17]
	v_mov_b32_e32 v18, s39
	v_add_co_u32_e64 v16, s[10:11], s38, v16
	v_addc_co_u32_e64 v17, s[10:11], v18, v17, s[10:11]
	global_load_dword v16, v[16:17], off offset:-4
	s_waitcnt vmcnt(0)
	v_cmp_eq_u32_e64 s[10:11], s46, v16
	s_orn2_b64 s[26:27], s[10:11], exec
.LBB0_33:                               ;   in Loop: Header=BB0_11 Depth=1
	s_or_b64 exec, exec, s[24:25]
	s_and_b64 s[24:25], s[26:27], exec
.LBB0_34:                               ;   in Loop: Header=BB0_11 Depth=1
	s_or_b64 exec, exec, s[22:23]
	s_orn2_b64 s[22:23], s[24:25], exec
.LBB0_35:                               ;   in Loop: Header=BB0_11 Depth=1
	s_or_b64 exec, exec, s[12:13]
	s_xor_b64 s[22:23], s[22:23], -1
	s_and_saveexec_b64 s[12:13], s[22:23]
	s_cbranch_execz .LBB0_37
; %bb.36:                               ;   in Loop: Header=BB0_11 Depth=1
	v_mad_u64_u32 v[16:17], s[10:11], v12, s20, v[3:4]
	v_add_u16_e32 v12, -1, v14
	v_mov_b32_e32 v14, s31
	v_ashrrev_i32_e32 v17, 31, v16
	v_add_co_u32_e64 v16, s[10:11], s30, v16
	v_addc_co_u32_e64 v17, s[10:11], v14, v17, s[10:11]
	v_add_co_u32_e64 v1, s[10:11], s30, v1
	global_store_byte v[16:17], v12, off
	v_add_u16_e32 v12, -1, v13
	v_addc_co_u32_e64 v2, s[10:11], v14, v2, s[10:11]
	global_store_byte v[1:2], v12, off
.LBB0_37:                               ;   in Loop: Header=BB0_11 Depth=1
	s_or_b64 exec, exec, s[12:13]
	s_waitcnt vmcnt(0)
	s_barrier
	s_and_saveexec_b64 s[12:13], s[22:23]
	s_cbranch_execz .LBB0_39
; %bb.38:                               ;   in Loop: Header=BB0_11 Depth=1
	v_mad_u64_u32 v[1:2], s[10:11], v15, s20, v[3:4]
	v_mov_b32_e32 v3, s31
	v_add_u32_e32 v13, 1, v11
	v_ashrrev_i32_e32 v2, 31, v1
	v_add_co_u32_e64 v1, s[10:11], s30, v1
	v_addc_co_u32_e64 v2, s[10:11], v3, v2, s[10:11]
	global_load_ubyte v12, v[1:2], off
	v_cmp_ne_u32_e64 s[10:11], s41, v11
	v_cndmask_b32_e64 v11, 0, v13, s[10:11]
	v_add_u32_e32 v4, v11, v4
	v_ashrrev_i32_e32 v11, 31, v4
	s_waitcnt vmcnt(0)
	v_add_u16_e32 v12, 1, v12
	global_store_byte v[1:2], v12, off
	v_add_co_u32_e64 v1, s[10:11], s30, v4
	v_addc_co_u32_e64 v2, s[10:11], v3, v11, s[10:11]
	global_load_ubyte v3, v[1:2], off
	s_waitcnt vmcnt(0)
	v_add_u16_e32 v3, 1, v3
	global_store_byte v[1:2], v3, off
.LBB0_39:                               ;   in Loop: Header=BB0_11 Depth=1
	s_or_b64 exec, exec, s[12:13]
	s_waitcnt vmcnt(0)
	s_barrier
	ds_read_b32 v1, v5 offset:1024
	s_add_i32 s46, s43, 11
	s_mov_b64 s[22:23], -1
                                        ; implicit-def: $vgpr16
                                        ; implicit-def: $vgpr15
                                        ; implicit-def: $vgpr14
	s_waitcnt lgkmcnt(0)
	v_mul_hi_u32 v2, v1, v6
	v_mul_lo_u32 v2, v2, s37
	v_sub_u32_e32 v1, v1, v2
	v_subrev_u32_e32 v2, s37, v1
	v_cmp_le_u32_e64 s[10:11], s37, v1
	v_cndmask_b32_e64 v1, v1, v2, s[10:11]
	v_subrev_u32_e32 v2, s37, v1
	v_cmp_le_u32_e64 s[10:11], s37, v1
	v_cndmask_b32_e64 v2, v1, v2, s[10:11]
	v_sub_u32_e32 v1, 0, v2
	v_max_i32_e32 v1, v2, v1
	v_mul_hi_u32 v4, v1, v8
	v_ashrrev_i32_e32 v3, 31, v2
	v_xor_b32_e32 v12, s44, v3
	v_mul_lo_u32 v11, v4, s40
	v_add_u32_e32 v13, 1, v4
	v_sub_u32_e32 v1, v1, v11
	v_cmp_le_u32_e64 s[10:11], s40, v1
	v_subrev_u32_e32 v11, s40, v1
	v_cndmask_b32_e64 v4, v4, v13, s[10:11]
	v_cndmask_b32_e64 v1, v1, v11, s[10:11]
	v_add_u32_e32 v11, 1, v4
	v_cmp_le_u32_e64 s[10:11], s40, v1
	v_cndmask_b32_e64 v1, v4, v11, s[10:11]
	v_xor_b32_e32 v1, v1, v12
	v_sub_u32_e32 v11, v1, v12
	v_mul_lo_u32 v12, v11, s20
	s_mov_b64 s[10:11], -1
                                        ; implicit-def: $vgpr13
                                        ; implicit-def: $vgpr4
	v_sub_u32_e32 v1, v2, v12
	s_and_saveexec_b64 s[24:25], s[4:5]
	s_cbranch_execz .LBB0_43
; %bb.40:                               ;   in Loop: Header=BB0_11 Depth=1
	v_mov_b32_e32 v4, s36
	v_cmp_eq_u32_e64 s[10:11], 0, v11
	v_cndmask_b32_e64 v4, v11, v4, s[10:11]
	v_add_u32_e32 v13, -1, v4
	v_and_b32_e32 v4, 1, v11
	v_add_u32_e32 v14, 1, v1
	v_cmp_ne_u32_e64 s[10:11], s41, v1
	v_cndmask_b32_e64 v14, 0, v14, s[10:11]
	v_cmp_eq_u32_e64 s[10:11], 0, v4
	v_cndmask_b32_e64 v4, v14, v1, s[10:11]
	v_mad_u64_u32 v[14:15], s[10:11], v13, s20, v[4:5]
	v_mov_b32_e32 v19, s31
	s_mov_b64 s[28:29], -1
	v_ashrrev_i32_e32 v15, 31, v14
	v_add_co_u32_e64 v16, s[10:11], s30, v14
	v_addc_co_u32_e64 v17, s[10:11], v19, v15, s[10:11]
	v_add_co_u32_e64 v18, s[10:11], s30, v2
	v_addc_co_u32_e64 v19, s[10:11], v19, v3, s[10:11]
	global_load_ubyte v14, v[18:19], off
	global_load_sbyte v15, v[16:17], off
	v_cmp_ne_u32_e64 s[10:11], s42, v11
	s_waitcnt vmcnt(1)
	v_bfe_i32 v14, v14, 0, 8
	s_waitcnt vmcnt(0)
	v_min_i16_e32 v16, v15, v14
	v_cmp_lt_i16_e64 s[12:13], 0, v16
	s_and_saveexec_b64 s[26:27], s[12:13]
	s_cbranch_execz .LBB0_42
; %bb.41:                               ;   in Loop: Header=BB0_11 Depth=1
	v_lshlrev_b64 v[16:17], 2, v[2:3]
	v_mov_b32_e32 v18, s39
	v_add_co_u32_e64 v16, s[12:13], s38, v16
	v_addc_co_u32_e64 v17, s[12:13], v18, v17, s[12:13]
	v_mov_b32_e32 v18, s46
	s_xor_b64 s[28:29], exec, -1
	global_store_dword v[16:17], v18, off
.LBB0_42:                               ;   in Loop: Header=BB0_11 Depth=1
	s_or_b64 exec, exec, s[26:27]
	v_add_u32_e32 v16, 1, v11
	v_cndmask_b32_e64 v16, 0, v16, s[10:11]
	s_orn2_b64 s[10:11], s[28:29], exec
.LBB0_43:                               ;   in Loop: Header=BB0_11 Depth=1
	s_or_b64 exec, exec, s[24:25]
	s_xor_b64 s[10:11], s[10:11], -1
	s_waitcnt vmcnt(0)
	s_barrier
	s_and_saveexec_b64 s[12:13], s[10:11]
	s_cbranch_execz .LBB0_49
; %bb.44:                               ;   in Loop: Header=BB0_11 Depth=1
	v_and_b32_e32 v17, 1, v11
	v_cmp_eq_u32_e64 s[10:11], 0, v17
	s_mov_b64 s[24:25], 0
	s_and_saveexec_b64 s[22:23], s[10:11]
	s_cbranch_execz .LBB0_48
; %bb.45:                               ;   in Loop: Header=BB0_11 Depth=1
	v_mad_u64_u32 v[17:18], s[10:11], v13, s20, v[4:5]
	v_mov_b32_e32 v19, s39
	s_mov_b64 s[26:27], -1
	v_ashrrev_i32_e32 v18, 31, v17
	v_lshlrev_b64 v[17:18], 2, v[17:18]
	v_add_co_u32_e64 v17, s[10:11], s38, v17
	v_addc_co_u32_e64 v18, s[10:11], v19, v18, s[10:11]
	global_load_dword v17, v[17:18], off
	s_waitcnt vmcnt(0)
	v_cmp_ne_u32_e64 s[10:11], s46, v17
	s_and_saveexec_b64 s[24:25], s[10:11]
	s_cbranch_execz .LBB0_47
; %bb.46:                               ;   in Loop: Header=BB0_11 Depth=1
	v_mul_lo_u32 v17, v16, s20
	v_mov_b32_e32 v18, s20
	v_cmp_eq_u32_e64 s[10:11], 0, v4
	v_cndmask_b32_e64 v18, v4, v18, s[10:11]
	v_ashrrev_i32_e32 v19, 31, v17
	v_ashrrev_i32_e32 v20, 31, v18
	v_add_co_u32_e64 v17, s[10:11], v18, v17
	v_addc_co_u32_e64 v18, s[10:11], v20, v19, s[10:11]
	v_lshlrev_b64 v[17:18], 2, v[17:18]
	v_mov_b32_e32 v19, s39
	v_add_co_u32_e64 v17, s[10:11], s38, v17
	v_addc_co_u32_e64 v18, s[10:11], v19, v18, s[10:11]
	global_load_dword v17, v[17:18], off offset:-4
	s_waitcnt vmcnt(0)
	v_cmp_eq_u32_e64 s[10:11], s46, v17
	s_orn2_b64 s[26:27], s[10:11], exec
.LBB0_47:                               ;   in Loop: Header=BB0_11 Depth=1
	s_or_b64 exec, exec, s[24:25]
	s_and_b64 s[24:25], s[26:27], exec
.LBB0_48:                               ;   in Loop: Header=BB0_11 Depth=1
	s_or_b64 exec, exec, s[22:23]
	s_orn2_b64 s[22:23], s[24:25], exec
.LBB0_49:                               ;   in Loop: Header=BB0_11 Depth=1
	s_or_b64 exec, exec, s[12:13]
	s_xor_b64 s[22:23], s[22:23], -1
	s_and_saveexec_b64 s[12:13], s[22:23]
	s_cbranch_execz .LBB0_51
; %bb.50:                               ;   in Loop: Header=BB0_11 Depth=1
	v_mad_u64_u32 v[17:18], s[10:11], v13, s20, v[4:5]
	v_add_u16_e32 v13, -1, v15
	v_mov_b32_e32 v15, s31
	v_ashrrev_i32_e32 v18, 31, v17
	v_add_co_u32_e64 v17, s[10:11], s30, v17
	v_addc_co_u32_e64 v18, s[10:11], v15, v18, s[10:11]
	v_add_co_u32_e64 v2, s[10:11], s30, v2
	global_store_byte v[17:18], v13, off
	v_add_u16_e32 v13, -1, v14
	v_addc_co_u32_e64 v3, s[10:11], v15, v3, s[10:11]
	global_store_byte v[2:3], v13, off
.LBB0_51:                               ;   in Loop: Header=BB0_11 Depth=1
	s_or_b64 exec, exec, s[12:13]
	s_waitcnt vmcnt(0)
	s_barrier
	s_and_saveexec_b64 s[12:13], s[22:23]
	s_cbranch_execz .LBB0_53
; %bb.52:                               ;   in Loop: Header=BB0_11 Depth=1
	v_mad_u64_u32 v[2:3], s[10:11], v16, s20, v[4:5]
	v_mov_b32_e32 v4, s31
	v_add_u32_e32 v14, 1, v1
	v_ashrrev_i32_e32 v3, 31, v2
	v_add_co_u32_e64 v2, s[10:11], s30, v2
	v_addc_co_u32_e64 v3, s[10:11], v4, v3, s[10:11]
	global_load_ubyte v13, v[2:3], off
	v_cmp_ne_u32_e64 s[10:11], s41, v1
	v_cndmask_b32_e64 v14, 0, v14, s[10:11]
	v_add_u32_e32 v12, v14, v12
	v_ashrrev_i32_e32 v14, 31, v12
	s_waitcnt vmcnt(0)
	v_add_u16_e32 v13, 1, v13
	global_store_byte v[2:3], v13, off
	v_add_co_u32_e64 v2, s[10:11], s30, v12
	v_addc_co_u32_e64 v3, s[10:11], v4, v14, s[10:11]
	global_load_ubyte v4, v[2:3], off
	s_waitcnt vmcnt(0)
	v_add_u16_e32 v4, 1, v4
	global_store_byte v[2:3], v4, off
.LBB0_53:                               ;   in Loop: Header=BB0_11 Depth=1
	s_or_b64 exec, exec, s[12:13]
	s_waitcnt vmcnt(0)
	s_barrier
	s_and_saveexec_b64 s[12:13], s[8:9]
	s_cbranch_execz .LBB0_55
; %bb.54:                               ;   in Loop: Header=BB0_11 Depth=1
	ds_read_b32 v1, v5 offset:2048
	s_waitcnt lgkmcnt(0)
	v_mul_hi_u32 v2, v1, v6
	v_mul_lo_u32 v2, v2, s37
	v_sub_u32_e32 v1, v1, v2
	v_subrev_u32_e32 v2, s37, v1
	v_cmp_le_u32_e64 s[10:11], s37, v1
	v_cndmask_b32_e64 v1, v1, v2, s[10:11]
	v_subrev_u32_e32 v2, s37, v1
	v_cmp_le_u32_e64 s[10:11], s37, v1
	v_cndmask_b32_e64 v1, v1, v2, s[10:11]
	v_sub_u32_e32 v2, 0, v1
	v_max_i32_e32 v2, v1, v2
	v_mul_hi_u32 v3, v2, v8
	v_ashrrev_i32_e32 v11, 31, v1
	v_xor_b32_e32 v11, s44, v11
	v_mul_lo_u32 v4, v3, s40
	v_add_u32_e32 v12, 1, v3
	v_sub_u32_e32 v2, v2, v4
	v_cmp_le_u32_e64 s[10:11], s40, v2
	v_subrev_u32_e32 v4, s40, v2
	v_cndmask_b32_e64 v3, v3, v12, s[10:11]
	v_cndmask_b32_e64 v2, v2, v4, s[10:11]
	v_add_u32_e32 v4, 1, v3
	v_cmp_le_u32_e64 s[10:11], s40, v2
	v_cndmask_b32_e64 v2, v3, v4, s[10:11]
	v_xor_b32_e32 v2, v2, v11
	v_sub_u32_e32 v11, v2, v11
	v_mul_lo_u32 v2, v11, s20
	v_sub_u32_e32 v1, v1, v2
.LBB0_55:                               ;   in Loop: Header=BB0_11 Depth=1
	s_or_b64 exec, exec, s[12:13]
	s_add_i32 s46, s43, 13
	s_mov_b64 s[22:23], -1
	s_mov_b64 s[10:11], -1
                                        ; implicit-def: $vgpr12
                                        ; implicit-def: $vgpr2
                                        ; implicit-def: $vgpr3
                                        ; implicit-def: $vgpr14
                                        ; implicit-def: $vgpr13
	s_and_saveexec_b64 s[24:25], s[8:9]
	s_cbranch_execz .LBB0_59
; %bb.56:                               ;   in Loop: Header=BB0_11 Depth=1
	v_mov_b32_e32 v2, s36
	v_cmp_eq_u32_e64 s[10:11], 0, v11
	v_cndmask_b32_e64 v2, v11, v2, s[10:11]
	v_add_u32_e32 v12, -1, v2
	v_and_b32_e32 v2, 1, v11
	v_add_u32_e32 v3, 1, v1
	v_cmp_ne_u32_e64 s[10:11], s41, v1
	v_cndmask_b32_e64 v3, 0, v3, s[10:11]
	v_cmp_eq_u32_e64 s[10:11], 0, v2
	v_cndmask_b32_e64 v2, v3, v1, s[10:11]
	v_mad_u64_u32 v[13:14], s[10:11], v12, s20, v[2:3]
	v_mad_u64_u32 v[3:4], s[10:11], v11, s20, v[1:2]
	v_ashrrev_i32_e32 v14, 31, v13
	v_mov_b32_e32 v18, s31
	v_add_co_u32_e64 v15, s[10:11], s30, v13
	v_addc_co_u32_e64 v16, s[10:11], v18, v14, s[10:11]
	v_ashrrev_i32_e32 v4, 31, v3
	v_add_co_u32_e64 v17, s[10:11], s30, v3
	v_addc_co_u32_e64 v18, s[10:11], v18, v4, s[10:11]
	global_load_ubyte v13, v[17:18], off
	global_load_sbyte v14, v[15:16], off
	v_cmp_ne_u32_e64 s[10:11], s42, v11
	s_mov_b64 s[28:29], -1
	s_waitcnt vmcnt(1)
	v_bfe_i32 v13, v13, 0, 8
	s_waitcnt vmcnt(0)
	v_min_i16_e32 v15, v14, v13
	v_cmp_lt_i16_e64 s[12:13], 0, v15
	s_and_saveexec_b64 s[26:27], s[12:13]
	s_cbranch_execz .LBB0_58
; %bb.57:                               ;   in Loop: Header=BB0_11 Depth=1
	v_lshlrev_b64 v[3:4], 2, v[3:4]
	v_mov_b32_e32 v15, s39
	v_add_co_u32_e64 v3, s[12:13], s38, v3
	v_addc_co_u32_e64 v4, s[12:13], v15, v4, s[12:13]
	v_mov_b32_e32 v15, s46
	s_xor_b64 s[28:29], exec, -1
	global_store_dword v[3:4], v15, off
.LBB0_58:                               ;   in Loop: Header=BB0_11 Depth=1
	s_or_b64 exec, exec, s[26:27]
	v_add_u32_e32 v3, 1, v11
	v_cndmask_b32_e64 v3, 0, v3, s[10:11]
	s_orn2_b64 s[10:11], s[28:29], exec
.LBB0_59:                               ;   in Loop: Header=BB0_11 Depth=1
	s_or_b64 exec, exec, s[24:25]
	s_xor_b64 s[10:11], s[10:11], -1
	s_waitcnt vmcnt(0)
	s_barrier
	s_and_saveexec_b64 s[12:13], s[10:11]
	s_cbranch_execz .LBB0_65
; %bb.60:                               ;   in Loop: Header=BB0_11 Depth=1
	v_and_b32_e32 v4, 1, v11
	v_cmp_eq_u32_e64 s[10:11], 0, v4
	s_mov_b64 s[24:25], 0
	s_and_saveexec_b64 s[22:23], s[10:11]
	s_cbranch_execz .LBB0_64
; %bb.61:                               ;   in Loop: Header=BB0_11 Depth=1
	v_mad_u64_u32 v[15:16], s[10:11], v12, s20, v[2:3]
	v_mov_b32_e32 v4, s39
	s_mov_b64 s[26:27], -1
	v_ashrrev_i32_e32 v16, 31, v15
	v_lshlrev_b64 v[15:16], 2, v[15:16]
	v_add_co_u32_e64 v15, s[10:11], s38, v15
	v_addc_co_u32_e64 v16, s[10:11], v4, v16, s[10:11]
	global_load_dword v4, v[15:16], off
	s_waitcnt vmcnt(0)
	v_cmp_ne_u32_e64 s[10:11], s46, v4
	s_and_saveexec_b64 s[24:25], s[10:11]
	s_cbranch_execz .LBB0_63
; %bb.62:                               ;   in Loop: Header=BB0_11 Depth=1
	v_mul_lo_u32 v4, v3, s20
	v_mov_b32_e32 v15, s20
	v_cmp_eq_u32_e64 s[10:11], 0, v2
	v_cndmask_b32_e64 v15, v2, v15, s[10:11]
	v_ashrrev_i32_e32 v16, 31, v4
	v_ashrrev_i32_e32 v17, 31, v15
	v_add_co_u32_e64 v15, s[10:11], v15, v4
	v_addc_co_u32_e64 v16, s[10:11], v17, v16, s[10:11]
	v_lshlrev_b64 v[15:16], 2, v[15:16]
	v_mov_b32_e32 v4, s39
	v_add_co_u32_e64 v15, s[10:11], s38, v15
	v_addc_co_u32_e64 v16, s[10:11], v4, v16, s[10:11]
	global_load_dword v4, v[15:16], off offset:-4
	s_waitcnt vmcnt(0)
	v_cmp_eq_u32_e64 s[10:11], s46, v4
	s_orn2_b64 s[26:27], s[10:11], exec
.LBB0_63:                               ;   in Loop: Header=BB0_11 Depth=1
	s_or_b64 exec, exec, s[24:25]
	s_and_b64 s[24:25], s[26:27], exec
.LBB0_64:                               ;   in Loop: Header=BB0_11 Depth=1
	s_or_b64 exec, exec, s[22:23]
	s_orn2_b64 s[22:23], s[24:25], exec
.LBB0_65:                               ;   in Loop: Header=BB0_11 Depth=1
	s_or_b64 exec, exec, s[12:13]
	s_xor_b64 s[12:13], s[22:23], -1
	s_and_saveexec_b64 s[22:23], s[12:13]
	s_cbranch_execz .LBB0_67
; %bb.66:                               ;   in Loop: Header=BB0_11 Depth=1
	v_mad_u64_u32 v[15:16], s[10:11], v12, s20, v[2:3]
	v_mad_u64_u32 v[16:17], s[10:11], v11, s20, v[1:2]
	v_add_u16_e32 v4, -1, v14
	v_mov_b32_e32 v18, s31
	v_ashrrev_i32_e32 v12, 31, v15
	v_add_co_u32_e64 v14, s[10:11], s30, v15
	v_addc_co_u32_e64 v15, s[10:11], v18, v12, s[10:11]
	global_store_byte v[14:15], v4, off
	v_add_u16_e32 v4, -1, v13
	v_ashrrev_i32_e32 v13, 31, v16
	v_add_co_u32_e64 v12, s[10:11], s30, v16
	v_addc_co_u32_e64 v13, s[10:11], v18, v13, s[10:11]
	global_store_byte v[12:13], v4, off
.LBB0_67:                               ;   in Loop: Header=BB0_11 Depth=1
	s_or_b64 exec, exec, s[22:23]
	s_waitcnt vmcnt(0)
	s_barrier
	s_and_saveexec_b64 s[22:23], s[12:13]
	s_cbranch_execz .LBB0_10
; %bb.68:                               ;   in Loop: Header=BB0_11 Depth=1
	v_mad_u64_u32 v[2:3], s[10:11], v3, s20, v[2:3]
	v_mov_b32_e32 v4, s31
	v_add_u32_e32 v12, 1, v1
	v_ashrrev_i32_e32 v3, 31, v2
	v_add_co_u32_e64 v2, s[10:11], s30, v2
	v_addc_co_u32_e64 v3, s[10:11], v4, v3, s[10:11]
	global_load_ubyte v13, v[2:3], off
	v_cmp_ne_u32_e64 s[10:11], s41, v1
	v_cndmask_b32_e64 v1, 0, v12, s[10:11]
	v_mad_u64_u32 v[11:12], s[10:11], v11, s20, v[1:2]
	v_ashrrev_i32_e32 v12, 31, v11
	s_waitcnt vmcnt(0)
	v_add_u16_e32 v1, 1, v13
	global_store_byte v[2:3], v1, off
	v_add_co_u32_e64 v1, s[10:11], s30, v11
	v_addc_co_u32_e64 v2, s[10:11], v4, v12, s[10:11]
	global_load_ubyte v3, v[1:2], off
	s_waitcnt vmcnt(0)
	v_add_u16_e32 v3, 1, v3
	global_store_byte v[1:2], v3, off
	s_branch .LBB0_10
.LBB0_69:
	s_andn2_b64 vcc, exec, s[14:15]
	s_cbranch_vccnz .LBB0_72
; %bb.70:
	v_mov_b32_e32 v2, 0
	v_mov_b32_e32 v4, 0
	;; [unrolled: 1-line block ×5, first 2 shown]
.LBB0_71:                               ; =>This Inner Loop Header: Depth=1
	v_lshlrev_b64 v[7:8], 2, v[1:2]
	s_add_i32 s34, s34, -1
	v_add_co_u32_e32 v7, vcc, s30, v7
	v_addc_co_u32_e32 v8, vcc, v6, v8, vcc
	global_load_dword v7, v[7:8], off
	v_add_u32_e32 v1, 0x100, v1
	s_cmp_lg_u32 s34, 0
	s_waitcnt vmcnt(0)
	v_mul_u32_u24_sdwa v8, v7, v7 dst_sel:DWORD dst_unused:UNUSED_PAD src0_sel:BYTE_0 src1_sel:BYTE_0
	v_max_i32_sdwa v4, v4, v7 dst_sel:DWORD dst_unused:UNUSED_PAD src0_sel:DWORD src1_sel:BYTE_0
	v_mul_u32_u24_sdwa v9, v7, v7 dst_sel:DWORD dst_unused:UNUSED_PAD src0_sel:BYTE_1 src1_sel:BYTE_1
	v_bfe_u32 v10, v7, 16, 8
	v_cvt_f32_u32_e32 v8, v8
	v_lshrrev_b32_e32 v11, 24, v7
	v_cvt_f32_u32_e32 v9, v9
	v_max_u32_sdwa v4, v4, v7 dst_sel:DWORD dst_unused:UNUSED_PAD src0_sel:DWORD src1_sel:BYTE_1
	v_mul_u32_u24_e32 v7, v10, v10
	v_mul_u32_u24_e32 v12, v11, v11
	v_cvt_f32_u32_e32 v7, v7
	v_cvt_f32_u32_e32 v12, v12
	v_add_f32_e32 v3, v3, v8
	v_add_f32_e32 v3, v3, v9
	;; [unrolled: 1-line block ×3, first 2 shown]
	v_max3_u32 v4, v4, v10, v11
	v_add_f32_e32 v3, v3, v12
	s_cbranch_scc1 .LBB0_71
	s_branch .LBB0_73
.LBB0_72:
	v_mov_b32_e32 v3, 0
	v_mov_b32_e32 v4, 0
.LBB0_73:
	s_and_b32 s2, s33, 0xfe
	s_add_i32 s2, s2, -1
	v_cmp_ge_u32_e32 vcc, s2, v0
	s_and_saveexec_b64 s[2:3], vcc
	s_cbranch_execz .LBB0_75
; %bb.74:
	v_add_u32_e32 v1, s35, v0
	v_mov_b32_e32 v2, 0
	v_lshlrev_b64 v[1:2], 2, v[1:2]
	v_mov_b32_e32 v6, s31
	v_add_co_u32_e32 v1, vcc, s30, v1
	v_addc_co_u32_e32 v2, vcc, v6, v2, vcc
	global_load_dword v1, v[1:2], off
	s_waitcnt vmcnt(0)
	v_and_b32_e32 v2, 0xff, v1
	v_bfe_u32 v6, v1, 8, 8
	v_mul_u32_u24_e32 v8, v2, v2
	v_bfe_u32 v7, v1, 16, 8
	v_mul_u32_u24_e32 v9, v6, v6
	v_cvt_f32_u32_e32 v8, v8
	v_lshrrev_b32_e32 v1, 24, v1
	v_max3_u32 v2, v4, v2, v6
	v_mul_u32_u24_e32 v4, v7, v7
	v_cvt_f32_u32_e32 v9, v9
	v_mul_u32_u24_e32 v6, v1, v1
	v_cvt_f32_u32_e32 v4, v4
	v_cvt_f32_u32_e32 v6, v6
	v_add_f32_e32 v3, v3, v8
	v_add_f32_e32 v3, v3, v9
	v_add_f32_e32 v3, v3, v4
	v_add_f32_e32 v3, v3, v6
	v_max3_u32 v4, v2, v7, v1
.LBB0_75:
	s_or_b64 exec, exec, s[2:3]
	s_movk_i32 s2, 0x80
	v_cmp_gt_u32_e32 vcc, s2, v0
	ds_write2st64_b32 v5, v3, v4 offset1:4
	s_waitcnt lgkmcnt(0)
	s_barrier
	s_and_saveexec_b64 s[2:3], vcc
	s_cbranch_execz .LBB0_78
; %bb.76:
	ds_read2st64_b32 v[3:4], v5 offset1:2
	ds_read2st64_b32 v[1:2], v5 offset0:4 offset1:6
	s_waitcnt lgkmcnt(1)
	v_add_f32_e32 v3, v4, v3
	s_waitcnt lgkmcnt(0)
	v_cmp_lt_u32_e32 vcc, v1, v2
	ds_write_b32 v5, v3
	s_and_b64 exec, exec, vcc
; %bb.77:
	ds_write_b32 v5, v2 offset:1024
.LBB0_78:
	s_or_b64 exec, exec, s[2:3]
	v_cmp_gt_u32_e32 vcc, 64, v0
	s_waitcnt lgkmcnt(0)
	s_barrier
	s_and_saveexec_b64 s[2:3], vcc
	s_cbranch_execz .LBB0_81
; %bb.79:
	ds_read2st64_b32 v[3:4], v5 offset1:1
	ds_read2st64_b32 v[1:2], v5 offset0:4 offset1:5
	s_waitcnt lgkmcnt(1)
	v_add_f32_e32 v3, v4, v3
	s_waitcnt lgkmcnt(0)
	v_cmp_lt_u32_e32 vcc, v1, v2
	ds_write_b32 v5, v3
	s_and_b64 exec, exec, vcc
; %bb.80:
	ds_write_b32 v5, v2 offset:1024
.LBB0_81:
	s_or_b64 exec, exec, s[2:3]
	v_cmp_gt_u32_e32 vcc, 32, v0
	s_waitcnt lgkmcnt(0)
	s_barrier
	s_and_saveexec_b64 s[2:3], vcc
	s_cbranch_execz .LBB0_84
; %bb.82:
	v_add_u32_e32 v1, 0x400, v5
	ds_read2_b32 v[3:4], v5 offset1:32
	ds_read2_b32 v[1:2], v1 offset1:32
	s_waitcnt lgkmcnt(1)
	v_add_f32_e32 v3, v4, v3
	s_waitcnt lgkmcnt(0)
	v_cmp_lt_u32_e32 vcc, v1, v2
	ds_write_b32 v5, v3
	s_and_b64 exec, exec, vcc
; %bb.83:
	ds_write_b32 v5, v2 offset:1024
.LBB0_84:
	s_or_b64 exec, exec, s[2:3]
	v_cmp_gt_u32_e32 vcc, 16, v0
	s_waitcnt lgkmcnt(0)
	s_barrier
	s_and_saveexec_b64 s[2:3], vcc
	s_cbranch_execz .LBB0_87
; %bb.85:
	v_add_u32_e32 v1, 0x400, v5
	ds_read2_b32 v[3:4], v5 offset1:16
	ds_read2_b32 v[1:2], v1 offset1:16
	s_waitcnt lgkmcnt(1)
	v_add_f32_e32 v3, v4, v3
	s_waitcnt lgkmcnt(0)
	v_cmp_lt_u32_e32 vcc, v1, v2
	ds_write_b32 v5, v3
	s_and_b64 exec, exec, vcc
; %bb.86:
	ds_write_b32 v5, v2 offset:1024
.LBB0_87:
	;; [unrolled: 19-line block ×5, first 2 shown]
	s_or_b64 exec, exec, s[2:3]
	s_waitcnt lgkmcnt(0)
	s_barrier
	s_and_saveexec_b64 s[2:3], s[0:1]
	s_cbranch_execz .LBB0_99
; %bb.97:
	v_add_u32_e64 v0, 4, 0
	ds_read2st64_b32 v[2:3], v5 offset1:4
	ds_read2st64_b32 v[0:1], v0 offset1:4
	s_waitcnt lgkmcnt(0)
	v_add_f32_e32 v0, v0, v2
	v_cmp_lt_u32_e32 vcc, v3, v1
	ds_write_b32 v5, v0
	s_and_b64 exec, exec, vcc
; %bb.98:
	ds_write_b32 v5, v1 offset:1024
.LBB0_99:
	s_or_b64 exec, exec, s[2:3]
	s_waitcnt lgkmcnt(0)
	s_barrier
	s_and_saveexec_b64 s[2:3], s[0:1]
	s_cbranch_execz .LBB0_101
; %bb.100:
	v_mov_b32_e32 v2, 0
	ds_read2st64_b32 v[0:1], v2 offset1:4
	v_cvt_f32_u32_e32 v3, s7
	s_mov_b32 s7, 0
	s_waitcnt lgkmcnt(0)
	v_div_scale_f32 v4, s[0:1], v3, v3, v0
	v_div_scale_f32 v5, vcc, v0, v3, v0
	s_lshl_b64 s[0:1], s[6:7], 2
	s_add_u32 s2, s16, s0
	s_addc_u32 s3, s17, s1
	s_add_u32 s0, s18, s0
	s_addc_u32 s1, s19, s1
	v_rcp_f32_e32 v6, v4
	v_fma_f32 v7, -v4, v6, 1.0
	v_fmac_f32_e32 v6, v7, v6
	v_mul_f32_e32 v7, v5, v6
	v_fma_f32 v8, -v4, v7, v5
	v_fmac_f32_e32 v7, v8, v6
	v_fma_f32 v4, -v4, v7, v5
	v_div_fmas_f32 v4, v4, v6, v7
	v_div_fixup_f32 v0, v4, v3, v0
	v_add_f32_e32 v0, -1.0, v0
	global_store_dword v2, v0, s[2:3]
	global_store_dword v2, v1, s[0:1]
.LBB0_101:
	s_endpgm
	.section	.rodata,"a",@progbits
	.p2align	6, 0x0
	.amdhsa_kernel _Z14PetrinetKernelPiPfS_iii
		.amdhsa_group_segment_fixed_size 2496
		.amdhsa_private_segment_fixed_size 0
		.amdhsa_kernarg_size 36
		.amdhsa_user_sgpr_count 6
		.amdhsa_user_sgpr_private_segment_buffer 1
		.amdhsa_user_sgpr_dispatch_ptr 0
		.amdhsa_user_sgpr_queue_ptr 0
		.amdhsa_user_sgpr_kernarg_segment_ptr 1
		.amdhsa_user_sgpr_dispatch_id 0
		.amdhsa_user_sgpr_flat_scratch_init 0
		.amdhsa_user_sgpr_private_segment_size 0
		.amdhsa_uses_dynamic_stack 0
		.amdhsa_system_sgpr_private_segment_wavefront_offset 0
		.amdhsa_system_sgpr_workgroup_id_x 1
		.amdhsa_system_sgpr_workgroup_id_y 0
		.amdhsa_system_sgpr_workgroup_id_z 0
		.amdhsa_system_sgpr_workgroup_info 0
		.amdhsa_system_vgpr_workitem_id 0
		.amdhsa_next_free_vgpr 29
		.amdhsa_next_free_sgpr 61
		.amdhsa_reserve_vcc 1
		.amdhsa_reserve_flat_scratch 0
		.amdhsa_float_round_mode_32 0
		.amdhsa_float_round_mode_16_64 0
		.amdhsa_float_denorm_mode_32 3
		.amdhsa_float_denorm_mode_16_64 3
		.amdhsa_dx10_clamp 1
		.amdhsa_ieee_mode 1
		.amdhsa_fp16_overflow 0
		.amdhsa_exception_fp_ieee_invalid_op 0
		.amdhsa_exception_fp_denorm_src 0
		.amdhsa_exception_fp_ieee_div_zero 0
		.amdhsa_exception_fp_ieee_overflow 0
		.amdhsa_exception_fp_ieee_underflow 0
		.amdhsa_exception_fp_ieee_inexact 0
		.amdhsa_exception_int_div_zero 0
	.end_amdhsa_kernel
	.text
.Lfunc_end0:
	.size	_Z14PetrinetKernelPiPfS_iii, .Lfunc_end0-_Z14PetrinetKernelPiPfS_iii
                                        ; -- End function
	.set _Z14PetrinetKernelPiPfS_iii.num_vgpr, 21
	.set _Z14PetrinetKernelPiPfS_iii.num_agpr, 0
	.set _Z14PetrinetKernelPiPfS_iii.numbered_sgpr, 47
	.set _Z14PetrinetKernelPiPfS_iii.num_named_barrier, 0
	.set _Z14PetrinetKernelPiPfS_iii.private_seg_size, 0
	.set _Z14PetrinetKernelPiPfS_iii.uses_vcc, 1
	.set _Z14PetrinetKernelPiPfS_iii.uses_flat_scratch, 0
	.set _Z14PetrinetKernelPiPfS_iii.has_dyn_sized_stack, 0
	.set _Z14PetrinetKernelPiPfS_iii.has_recursion, 0
	.set _Z14PetrinetKernelPiPfS_iii.has_indirect_call, 0
	.section	.AMDGPU.csdata,"",@progbits
; Kernel info:
; codeLenInByte = 5172
; TotalNumSgprs: 51
; NumVgprs: 21
; ScratchSize: 0
; MemoryBound: 0
; FloatMode: 240
; IeeeMode: 1
; LDSByteSize: 2496 bytes/workgroup (compile time only)
; SGPRBlocks: 8
; VGPRBlocks: 7
; NumSGPRsForWavesPerEU: 65
; NumVGPRsForWavesPerEU: 29
; Occupancy: 8
; WaveLimiterHint : 0
; COMPUTE_PGM_RSRC2:SCRATCH_EN: 0
; COMPUTE_PGM_RSRC2:USER_SGPR: 6
; COMPUTE_PGM_RSRC2:TRAP_HANDLER: 0
; COMPUTE_PGM_RSRC2:TGID_X_EN: 1
; COMPUTE_PGM_RSRC2:TGID_Y_EN: 0
; COMPUTE_PGM_RSRC2:TGID_Z_EN: 0
; COMPUTE_PGM_RSRC2:TIDIG_COMP_CNT: 0
	.section	.AMDGPU.gpr_maximums,"",@progbits
	.set amdgpu.max_num_vgpr, 0
	.set amdgpu.max_num_agpr, 0
	.set amdgpu.max_num_sgpr, 0
	.section	.AMDGPU.csdata,"",@progbits
	.type	__hip_cuid_6903d9bd7b2eba96,@object ; @__hip_cuid_6903d9bd7b2eba96
	.section	.bss,"aw",@nobits
	.globl	__hip_cuid_6903d9bd7b2eba96
__hip_cuid_6903d9bd7b2eba96:
	.byte	0                               ; 0x0
	.size	__hip_cuid_6903d9bd7b2eba96, 1

	.ident	"AMD clang version 22.0.0git (https://github.com/RadeonOpenCompute/llvm-project roc-7.2.4 26084 f58b06dce1f9c15707c5f808fd002e18c2accf7e)"
	.section	".note.GNU-stack","",@progbits
	.addrsig
	.addrsig_sym __hip_cuid_6903d9bd7b2eba96
	.amdgpu_metadata
---
amdhsa.kernels:
  - .args:
      - .address_space:  global
        .offset:         0
        .size:           8
        .value_kind:     global_buffer
      - .actual_access:  write_only
        .address_space:  global
        .offset:         8
        .size:           8
        .value_kind:     global_buffer
      - .actual_access:  write_only
        .address_space:  global
        .offset:         16
        .size:           8
        .value_kind:     global_buffer
      - .offset:         24
        .size:           4
        .value_kind:     by_value
      - .offset:         28
        .size:           4
        .value_kind:     by_value
      - .offset:         32
        .size:           4
        .value_kind:     by_value
    .group_segment_fixed_size: 2496
    .kernarg_segment_align: 8
    .kernarg_segment_size: 36
    .language:       OpenCL C
    .language_version:
      - 2
      - 0
    .max_flat_workgroup_size: 1024
    .name:           _Z14PetrinetKernelPiPfS_iii
    .private_segment_fixed_size: 0
    .sgpr_count:     51
    .sgpr_spill_count: 0
    .symbol:         _Z14PetrinetKernelPiPfS_iii.kd
    .uniform_work_group_size: 1
    .uses_dynamic_stack: false
    .vgpr_count:     21
    .vgpr_spill_count: 0
    .wavefront_size: 64
amdhsa.target:   amdgcn-amd-amdhsa--gfx906
amdhsa.version:
  - 1
  - 2
...

	.end_amdgpu_metadata
